;; amdgpu-corpus repo=llvm/llvm-project kind=harvested arch=n/a opt=n/a
// NOTE: Assertions have been autogenerated by utils/update_mc_test_checks.py UTC_ARGS: --version 5
// RUN: llvm-mc -triple=amdgcn -mcpu=gfx1250 -mattr=+real-true16 -show-encoding %s | FileCheck --check-prefixes=GFX1250,GFX1250-ASM %s
// RUN: llvm-mc -triple=amdgcn -mcpu=gfx1250 -mattr=+real-true16 -show-encoding %s | %extract-encodings | llvm-mc -triple=amdgcn -mcpu=gfx1250 -mattr=+real-true16 -disassemble -show-encoding | FileCheck --check-prefixes=GFX1250,GFX1250-DIS %s

v_mov_b64_e32 v[4:5], v[2:3]
// GFX1250: v_mov_b64_e32 v[4:5], v[2:3]            ; encoding: [0x02,0x3b,0x08,0x7e]

v_mov_b64 v[4:5], v[254:255]
// GFX1250: v_mov_b64_e32 v[4:5], v[254:255]        ; encoding: [0xfe,0x3b,0x08,0x7e]

v_mov_b64 v[4:5], s[2:3]
// GFX1250: v_mov_b64_e32 v[4:5], s[2:3]            ; encoding: [0x02,0x3a,0x08,0x7e]

v_mov_b64 v[4:5], vcc
// GFX1250: v_mov_b64_e32 v[4:5], vcc               ; encoding: [0x6a,0x3a,0x08,0x7e]

v_mov_b64 v[4:5], exec
// GFX1250: v_mov_b64_e32 v[4:5], exec              ; encoding: [0x7e,0x3a,0x08,0x7e]

v_mov_b64 v[4:5], null
// GFX1250: v_mov_b64_e32 v[4:5], null              ; encoding: [0x7c,0x3a,0x08,0x7e]

v_mov_b64 v[4:5], -1
// GFX1250: v_mov_b64_e32 v[4:5], -1                ; encoding: [0xc1,0x3a,0x08,0x7e]

v_mov_b64 v[4:5], 0.5
// GFX1250: v_mov_b64_e32 v[4:5], 0.5               ; encoding: [0xf0,0x3a,0x08,0x7e]

// TODO: Encode as a 32-bit literal unless lit64() is specified.
v_mov_b64 v[254:255], 0xaf123456
// GFX1250-ASM: v_mov_b64_e32 v[254:255], 0xaf123456    ; encoding: [0xfe,0x3a,0xfc,0x7f,0x56,0x34,0x12,0xaf,0x00,0x00,0x00,0x00]
// GFX1250-DIS: v_mov_b64_e32 v[254:255], lit64(0xaf123456) ; encoding: [0xfe,0x3a,0xfc,0x7f,0x56,0x34,0x12,0xaf,0x00,0x00,0x00,0x00]

v_tanh_f32 v5, v1
// GFX1250: v_tanh_f32_e32 v5, v1                   ; encoding: [0x01,0x3d,0x0a,0x7e]

v_tanh_f32 v5, v255
// GFX1250: v_tanh_f32_e32 v5, v255                 ; encoding: [0xff,0x3d,0x0a,0x7e]

v_tanh_f32 v5, s1
// GFX1250: v_tanh_f32_e32 v5, s1                   ; encoding: [0x01,0x3c,0x0a,0x7e]

v_tanh_f32 v5, s105
// GFX1250: v_tanh_f32_e32 v5, s105                 ; encoding: [0x69,0x3c,0x0a,0x7e]

v_tanh_f32 v5, vcc_lo
// GFX1250: v_tanh_f32_e32 v5, vcc_lo               ; encoding: [0x6a,0x3c,0x0a,0x7e]

v_tanh_f32 v5, vcc_hi
// GFX1250: v_tanh_f32_e32 v5, vcc_hi               ; encoding: [0x6b,0x3c,0x0a,0x7e]

v_tanh_f32 v5, ttmp15
// GFX1250: v_tanh_f32_e32 v5, ttmp15               ; encoding: [0x7b,0x3c,0x0a,0x7e]

v_tanh_f32 v5, m0
// GFX1250: v_tanh_f32_e32 v5, m0                   ; encoding: [0x7d,0x3c,0x0a,0x7e]

v_tanh_f32 v5, exec_lo
// GFX1250: v_tanh_f32_e32 v5, exec_lo              ; encoding: [0x7e,0x3c,0x0a,0x7e]

v_tanh_f32 v5, exec_hi
// GFX1250: v_tanh_f32_e32 v5, exec_hi              ; encoding: [0x7f,0x3c,0x0a,0x7e]

v_tanh_f32 v5, null
// GFX1250: v_tanh_f32_e32 v5, null                 ; encoding: [0x7c,0x3c,0x0a,0x7e]

v_tanh_f32 v5, -1
// GFX1250: v_tanh_f32_e32 v5, -1                   ; encoding: [0xc1,0x3c,0x0a,0x7e]

v_tanh_f32 v5, 0.5
// GFX1250: v_tanh_f32_e32 v5, 0.5                  ; encoding: [0xf0,0x3c,0x0a,0x7e]

v_tanh_f32 v5, src_scc
// GFX1250: v_tanh_f32_e32 v5, src_scc              ; encoding: [0xfd,0x3c,0x0a,0x7e]

v_tanh_f32 v255, 0xaf123456
// GFX1250: v_tanh_f32_e32 v255, 0xaf123456         ; encoding: [0xff,0x3c,0xfe,0x7f,0x56,0x34,0x12,0xaf]

v_tanh_f16 v5.l, v1.l
// GFX1250: v_tanh_f16_e32 v5.l, v1.l               ; encoding: [0x01,0x3f,0x0a,0x7e]

v_tanh_f16 v5.l, v127.l
// GFX1250: v_tanh_f16_e32 v5.l, v127.l             ; encoding: [0x7f,0x3f,0x0a,0x7e]

v_tanh_f16 v5.l, s1
// GFX1250: v_tanh_f16_e32 v5.l, s1                 ; encoding: [0x01,0x3e,0x0a,0x7e]

v_tanh_f16 v5.l, s105
// GFX1250: v_tanh_f16_e32 v5.l, s105               ; encoding: [0x69,0x3e,0x0a,0x7e]

v_tanh_f16 v5.l, vcc_lo
// GFX1250: v_tanh_f16_e32 v5.l, vcc_lo             ; encoding: [0x6a,0x3e,0x0a,0x7e]

v_tanh_f16 v5.l, vcc_hi
// GFX1250: v_tanh_f16_e32 v5.l, vcc_hi             ; encoding: [0x6b,0x3e,0x0a,0x7e]

v_tanh_f16 v5.l, ttmp15
// GFX1250: v_tanh_f16_e32 v5.l, ttmp15             ; encoding: [0x7b,0x3e,0x0a,0x7e]

v_tanh_f16 v5.l, m0
// GFX1250: v_tanh_f16_e32 v5.l, m0                 ; encoding: [0x7d,0x3e,0x0a,0x7e]

v_tanh_f16 v5.l, exec_lo
// GFX1250: v_tanh_f16_e32 v5.l, exec_lo            ; encoding: [0x7e,0x3e,0x0a,0x7e]

v_tanh_f16 v5.l, exec_hi
// GFX1250: v_tanh_f16_e32 v5.l, exec_hi            ; encoding: [0x7f,0x3e,0x0a,0x7e]

v_tanh_f16 v5.l, null
// GFX1250: v_tanh_f16_e32 v5.l, null               ; encoding: [0x7c,0x3e,0x0a,0x7e]

v_tanh_f16 v5.l, -1
// GFX1250: v_tanh_f16_e32 v5.l, -1                 ; encoding: [0xc1,0x3e,0x0a,0x7e]

v_tanh_f16 v5.l, 0.5
// GFX1250: v_tanh_f16_e32 v5.l, 0.5                ; encoding: [0xf0,0x3e,0x0a,0x7e]

v_tanh_f16 v5.l, src_scc
// GFX1250: v_tanh_f16_e32 v5.l, src_scc            ; encoding: [0xfd,0x3e,0x0a,0x7e]

v_tanh_f16 v127.l, 0x8000
// GFX1250: v_tanh_f16_e32 v127.l, 0x8000           ; encoding: [0xff,0x3e,0xfe,0x7e,0x00,0x80,0x00,0x00]

v_tanh_f16 v5.h, v1.h
// GFX1250: v_tanh_f16_e32 v5.h, v1.h               ; encoding: [0x81,0x3f,0x0a,0x7f]

v_tanh_bf16 v5.l, v1.l
// GFX1250: v_tanh_bf16_e32 v5.l, v1.l              ; encoding: [0x01,0x95,0x0a,0x7e]

v_tanh_bf16 v5.l, v127.l
// GFX1250: v_tanh_bf16_e32 v5.l, v127.l            ; encoding: [0x7f,0x95,0x0a,0x7e]

v_tanh_bf16 v5.l, s1
// GFX1250: v_tanh_bf16_e32 v5.l, s1                ; encoding: [0x01,0x94,0x0a,0x7e]

v_tanh_bf16 v5.l, s105
// GFX1250: v_tanh_bf16_e32 v5.l, s105              ; encoding: [0x69,0x94,0x0a,0x7e]

v_tanh_bf16 v5.l, vcc_lo
// GFX1250: v_tanh_bf16_e32 v5.l, vcc_lo            ; encoding: [0x6a,0x94,0x0a,0x7e]

v_tanh_bf16 v5.l, vcc_hi
// GFX1250: v_tanh_bf16_e32 v5.l, vcc_hi            ; encoding: [0x6b,0x94,0x0a,0x7e]

v_tanh_bf16 v5.l, ttmp15
// GFX1250: v_tanh_bf16_e32 v5.l, ttmp15            ; encoding: [0x7b,0x94,0x0a,0x7e]

v_tanh_bf16 v5.l, m0
// GFX1250: v_tanh_bf16_e32 v5.l, m0                ; encoding: [0x7d,0x94,0x0a,0x7e]

v_tanh_bf16 v5.l, exec_lo
// GFX1250: v_tanh_bf16_e32 v5.l, exec_lo           ; encoding: [0x7e,0x94,0x0a,0x7e]

v_tanh_bf16 v5.l, exec_hi
// GFX1250: v_tanh_bf16_e32 v5.l, exec_hi           ; encoding: [0x7f,0x94,0x0a,0x7e]

v_tanh_bf16 v5.l, null
// GFX1250: v_tanh_bf16_e32 v5.l, null              ; encoding: [0x7c,0x94,0x0a,0x7e]

v_tanh_bf16 v5.l, -1
// GFX1250: v_tanh_bf16_e32 v5.l, -1                ; encoding: [0xc1,0x94,0x0a,0x7e]

v_tanh_bf16 v5.l, 0.5
// GFX1250: v_tanh_bf16_e32 v5.l, 0.5               ; encoding: [0xf0,0x94,0x0a,0x7e]

v_tanh_bf16 v5.l, src_scc
// GFX1250: v_tanh_bf16_e32 v5.l, src_scc           ; encoding: [0xfd,0x94,0x0a,0x7e]

v_tanh_bf16 v127.l, 0x8000
// GFX1250: v_tanh_bf16_e32 v127.l, 0x8000          ; encoding: [0xff,0x94,0xfe,0x7e,0x00,0x80,0x00,0x00]

v_tanh_bf16 v5.h, v1.h
// GFX1250: v_tanh_bf16_e32 v5.h, v1.h              ; encoding: [0x81,0x95,0x0a,0x7f]

v_prng_b32 v5, v1
// GFX1250: v_prng_b32_e32 v5, v1                   ; encoding: [0x01,0x97,0x0a,0x7e]

v_prng_b32 v5, v255
// GFX1250: v_prng_b32_e32 v5, v255                 ; encoding: [0xff,0x97,0x0a,0x7e]

v_prng_b32 v5, s1
// GFX1250: v_prng_b32_e32 v5, s1                   ; encoding: [0x01,0x96,0x0a,0x7e]

v_prng_b32 v5, s105
// GFX1250: v_prng_b32_e32 v5, s105                 ; encoding: [0x69,0x96,0x0a,0x7e]

v_prng_b32 v5, vcc_lo
// GFX1250: v_prng_b32_e32 v5, vcc_lo               ; encoding: [0x6a,0x96,0x0a,0x7e]

v_prng_b32 v5, vcc_hi
// GFX1250: v_prng_b32_e32 v5, vcc_hi               ; encoding: [0x6b,0x96,0x0a,0x7e]

v_prng_b32 v5, ttmp15
// GFX1250: v_prng_b32_e32 v5, ttmp15               ; encoding: [0x7b,0x96,0x0a,0x7e]

v_prng_b32 v5, m0
// GFX1250: v_prng_b32_e32 v5, m0                   ; encoding: [0x7d,0x96,0x0a,0x7e]

v_prng_b32 v5, exec_lo
// GFX1250: v_prng_b32_e32 v5, exec_lo              ; encoding: [0x7e,0x96,0x0a,0x7e]

v_prng_b32 v5, exec_hi
// GFX1250: v_prng_b32_e32 v5, exec_hi              ; encoding: [0x7f,0x96,0x0a,0x7e]

v_prng_b32 v5, null
// GFX1250: v_prng_b32_e32 v5, null                 ; encoding: [0x7c,0x96,0x0a,0x7e]

v_prng_b32 v5, -1
// GFX1250: v_prng_b32_e32 v5, -1                   ; encoding: [0xc1,0x96,0x0a,0x7e]

v_prng_b32 v5, 0.5
// GFX1250: v_prng_b32_e32 v5, 0.5                  ; encoding: [0xf0,0x96,0x0a,0x7e]

v_prng_b32 v5, src_scc
// GFX1250: v_prng_b32_e32 v5, src_scc              ; encoding: [0xfd,0x96,0x0a,0x7e]

v_prng_b32 v255, 0xaf123456
// GFX1250: v_prng_b32_e32 v255, 0xaf123456         ; encoding: [0xff,0x96,0xfe,0x7f,0x56,0x34,0x12,0xaf]

v_rcp_bf16 v5.l, v1.l
// GFX1250: v_rcp_bf16_e32 v5.l, v1.l               ; encoding: [0x01,0xf3,0x0a,0x7e]

v_rcp_bf16 v5.l, v127.l
// GFX1250: v_rcp_bf16_e32 v5.l, v127.l             ; encoding: [0x7f,0xf3,0x0a,0x7e]

v_rcp_bf16 v5.l, s1
// GFX1250: v_rcp_bf16_e32 v5.l, s1                 ; encoding: [0x01,0xf2,0x0a,0x7e]

v_rcp_bf16 v5.l, s105
// GFX1250: v_rcp_bf16_e32 v5.l, s105               ; encoding: [0x69,0xf2,0x0a,0x7e]

v_rcp_bf16 v5.l, vcc_lo
// GFX1250: v_rcp_bf16_e32 v5.l, vcc_lo             ; encoding: [0x6a,0xf2,0x0a,0x7e]

v_rcp_bf16 v5.l, vcc_hi
// GFX1250: v_rcp_bf16_e32 v5.l, vcc_hi             ; encoding: [0x6b,0xf2,0x0a,0x7e]

v_rcp_bf16 v5.l, ttmp15
// GFX1250: v_rcp_bf16_e32 v5.l, ttmp15             ; encoding: [0x7b,0xf2,0x0a,0x7e]

v_rcp_bf16 v5.l, m0
// GFX1250: v_rcp_bf16_e32 v5.l, m0                 ; encoding: [0x7d,0xf2,0x0a,0x7e]

v_rcp_bf16 v5.l, exec_lo
// GFX1250: v_rcp_bf16_e32 v5.l, exec_lo            ; encoding: [0x7e,0xf2,0x0a,0x7e]

v_rcp_bf16 v5.l, exec_hi
// GFX1250: v_rcp_bf16_e32 v5.l, exec_hi            ; encoding: [0x7f,0xf2,0x0a,0x7e]

v_rcp_bf16 v5.l, null
// GFX1250: v_rcp_bf16_e32 v5.l, null               ; encoding: [0x7c,0xf2,0x0a,0x7e]

v_rcp_bf16 v5.l, -1
// GFX1250: v_rcp_bf16_e32 v5.l, -1                 ; encoding: [0xc1,0xf2,0x0a,0x7e]

v_rcp_bf16 v5.l, 0.5
// GFX1250: v_rcp_bf16_e32 v5.l, 0.5                ; encoding: [0xf0,0xf2,0x0a,0x7e]

v_rcp_bf16 v5.l, src_scc
// GFX1250: v_rcp_bf16_e32 v5.l, src_scc            ; encoding: [0xfd,0xf2,0x0a,0x7e]

v_rcp_bf16 v127.l, 0x8000
// GFX1250: v_rcp_bf16_e32 v127.l, 0x8000           ; encoding: [0xff,0xf2,0xfe,0x7e,0x00,0x80,0x00,0x00]

v_rcp_bf16 v5.h, v1.h
// GFX1250: v_rcp_bf16_e32 v5.h, v1.h               ; encoding: [0x81,0xf3,0x0a,0x7f]

v_sqrt_bf16 v5.l, v1.l
// GFX1250: v_sqrt_bf16_e32 v5.l, v1.l              ; encoding: [0x01,0xf5,0x0a,0x7e]

v_sqrt_bf16 v5.l, v127.l
// GFX1250: v_sqrt_bf16_e32 v5.l, v127.l            ; encoding: [0x7f,0xf5,0x0a,0x7e]

v_sqrt_bf16 v5.l, s1
// GFX1250: v_sqrt_bf16_e32 v5.l, s1                ; encoding: [0x01,0xf4,0x0a,0x7e]

v_sqrt_bf16 v5.l, s105
// GFX1250: v_sqrt_bf16_e32 v5.l, s105              ; encoding: [0x69,0xf4,0x0a,0x7e]

v_sqrt_bf16 v5.l, vcc_lo
// GFX1250: v_sqrt_bf16_e32 v5.l, vcc_lo            ; encoding: [0x6a,0xf4,0x0a,0x7e]

v_sqrt_bf16 v5.l, vcc_hi
// GFX1250: v_sqrt_bf16_e32 v5.l, vcc_hi            ; encoding: [0x6b,0xf4,0x0a,0x7e]

v_sqrt_bf16 v5.l, ttmp15
// GFX1250: v_sqrt_bf16_e32 v5.l, ttmp15            ; encoding: [0x7b,0xf4,0x0a,0x7e]

v_sqrt_bf16 v5.l, m0
// GFX1250: v_sqrt_bf16_e32 v5.l, m0                ; encoding: [0x7d,0xf4,0x0a,0x7e]

v_sqrt_bf16 v5.l, exec_lo
// GFX1250: v_sqrt_bf16_e32 v5.l, exec_lo           ; encoding: [0x7e,0xf4,0x0a,0x7e]

v_sqrt_bf16 v5.l, exec_hi
// GFX1250: v_sqrt_bf16_e32 v5.l, exec_hi           ; encoding: [0x7f,0xf4,0x0a,0x7e]

v_sqrt_bf16 v5.l, null
// GFX1250: v_sqrt_bf16_e32 v5.l, null              ; encoding: [0x7c,0xf4,0x0a,0x7e]

v_sqrt_bf16 v5.l, -1
// GFX1250: v_sqrt_bf16_e32 v5.l, -1                ; encoding: [0xc1,0xf4,0x0a,0x7e]

v_sqrt_bf16 v5.l, 0.5
// GFX1250: v_sqrt_bf16_e32 v5.l, 0.5               ; encoding: [0xf0,0xf4,0x0a,0x7e]

v_sqrt_bf16 v5.l, src_scc
// GFX1250: v_sqrt_bf16_e32 v5.l, src_scc           ; encoding: [0xfd,0xf4,0x0a,0x7e]

v_sqrt_bf16 v127.l, 0x8000
// GFX1250: v_sqrt_bf16_e32 v127.l, 0x8000          ; encoding: [0xff,0xf4,0xfe,0x7e,0x00,0x80,0x00,0x00]

v_sqrt_bf16 v5.h, v1.h
// GFX1250: v_sqrt_bf16_e32 v5.h, v1.h              ; encoding: [0x81,0xf5,0x0a,0x7f]

v_rsq_bf16 v5.l, v1.l
// GFX1250: v_rsq_bf16_e32 v5.l, v1.l               ; encoding: [0x01,0xf7,0x0a,0x7e]

v_rsq_bf16 v5.l, v127.l
// GFX1250: v_rsq_bf16_e32 v5.l, v127.l             ; encoding: [0x7f,0xf7,0x0a,0x7e]

v_rsq_bf16 v5.l, s1
// GFX1250: v_rsq_bf16_e32 v5.l, s1                 ; encoding: [0x01,0xf6,0x0a,0x7e]

v_rsq_bf16 v5.l, s105
// GFX1250: v_rsq_bf16_e32 v5.l, s105               ; encoding: [0x69,0xf6,0x0a,0x7e]

v_rsq_bf16 v5.l, vcc_lo
// GFX1250: v_rsq_bf16_e32 v5.l, vcc_lo             ; encoding: [0x6a,0xf6,0x0a,0x7e]

v_rsq_bf16 v5.l, vcc_hi
// GFX1250: v_rsq_bf16_e32 v5.l, vcc_hi             ; encoding: [0x6b,0xf6,0x0a,0x7e]

v_rsq_bf16 v5.l, ttmp15
// GFX1250: v_rsq_bf16_e32 v5.l, ttmp15             ; encoding: [0x7b,0xf6,0x0a,0x7e]

v_rsq_bf16 v5.l, m0
// GFX1250: v_rsq_bf16_e32 v5.l, m0                 ; encoding: [0x7d,0xf6,0x0a,0x7e]

v_rsq_bf16 v5.l, exec_lo
// GFX1250: v_rsq_bf16_e32 v5.l, exec_lo            ; encoding: [0x7e,0xf6,0x0a,0x7e]

v_rsq_bf16 v5.l, exec_hi
// GFX1250: v_rsq_bf16_e32 v5.l, exec_hi            ; encoding: [0x7f,0xf6,0x0a,0x7e]

v_rsq_bf16 v5.l, null
// GFX1250: v_rsq_bf16_e32 v5.l, null               ; encoding: [0x7c,0xf6,0x0a,0x7e]

v_rsq_bf16 v5.l, -1
// GFX1250: v_rsq_bf16_e32 v5.l, -1                 ; encoding: [0xc1,0xf6,0x0a,0x7e]

v_rsq_bf16 v5.l, 0.5
// GFX1250: v_rsq_bf16_e32 v5.l, 0.5                ; encoding: [0xf0,0xf6,0x0a,0x7e]

v_rsq_bf16 v5.l, src_scc
// GFX1250: v_rsq_bf16_e32 v5.l, src_scc            ; encoding: [0xfd,0xf6,0x0a,0x7e]

v_rsq_bf16 v127.l, 0x8000
// GFX1250: v_rsq_bf16_e32 v127.l, 0x8000           ; encoding: [0xff,0xf6,0xfe,0x7e,0x00,0x80,0x00,0x00]

v_rsq_bf16 v5.h, v1.h
// GFX1250: v_rsq_bf16_e32 v5.h, v1.h               ; encoding: [0x81,0xf7,0x0a,0x7f]

v_log_bf16 v5.l, v1.l
// GFX1250: v_log_bf16_e32 v5.l, v1.l               ; encoding: [0x01,0xf9,0x0a,0x7e]

v_log_bf16 v5.l, v127.l
// GFX1250: v_log_bf16_e32 v5.l, v127.l             ; encoding: [0x7f,0xf9,0x0a,0x7e]

v_log_bf16 v5.l, s1
// GFX1250: v_log_bf16_e32 v5.l, s1                 ; encoding: [0x01,0xf8,0x0a,0x7e]

v_log_bf16 v5.l, s105
// GFX1250: v_log_bf16_e32 v5.l, s105               ; encoding: [0x69,0xf8,0x0a,0x7e]

v_log_bf16 v5.l, vcc_lo
// GFX1250: v_log_bf16_e32 v5.l, vcc_lo             ; encoding: [0x6a,0xf8,0x0a,0x7e]

v_log_bf16 v5.l, vcc_hi
// GFX1250: v_log_bf16_e32 v5.l, vcc_hi             ; encoding: [0x6b,0xf8,0x0a,0x7e]

v_log_bf16 v5.l, ttmp15
// GFX1250: v_log_bf16_e32 v5.l, ttmp15             ; encoding: [0x7b,0xf8,0x0a,0x7e]

v_log_bf16 v5.l, m0
// GFX1250: v_log_bf16_e32 v5.l, m0                 ; encoding: [0x7d,0xf8,0x0a,0x7e]

v_log_bf16 v5.l, exec_lo
// GFX1250: v_log_bf16_e32 v5.l, exec_lo            ; encoding: [0x7e,0xf8,0x0a,0x7e]

v_log_bf16 v5.l, exec_hi
// GFX1250: v_log_bf16_e32 v5.l, exec_hi            ; encoding: [0x7f,0xf8,0x0a,0x7e]

v_log_bf16 v5.l, null
// GFX1250: v_log_bf16_e32 v5.l, null               ; encoding: [0x7c,0xf8,0x0a,0x7e]

v_log_bf16 v5.l, -1
// GFX1250: v_log_bf16_e32 v5.l, -1                 ; encoding: [0xc1,0xf8,0x0a,0x7e]

v_log_bf16 v5.l, 0.5
// GFX1250: v_log_bf16_e32 v5.l, 0.5                ; encoding: [0xf0,0xf8,0x0a,0x7e]

v_log_bf16 v5.l, src_scc
// GFX1250: v_log_bf16_e32 v5.l, src_scc            ; encoding: [0xfd,0xf8,0x0a,0x7e]

v_log_bf16 v127.l, 0x8000
// GFX1250: v_log_bf16_e32 v127.l, 0x8000           ; encoding: [0xff,0xf8,0xfe,0x7e,0x00,0x80,0x00,0x00]

v_log_bf16 v5.h, v1.h
// GFX1250: v_log_bf16_e32 v5.h, v1.h               ; encoding: [0x81,0xf9,0x0a,0x7f]

v_exp_bf16 v5.l, v1.l
// GFX1250: v_exp_bf16_e32 v5.l, v1.l               ; encoding: [0x01,0xfb,0x0a,0x7e]

v_exp_bf16 v5.l, v127.l
// GFX1250: v_exp_bf16_e32 v5.l, v127.l             ; encoding: [0x7f,0xfb,0x0a,0x7e]

v_exp_bf16 v5.l, s1
// GFX1250: v_exp_bf16_e32 v5.l, s1                 ; encoding: [0x01,0xfa,0x0a,0x7e]

v_exp_bf16 v5.l, s105
// GFX1250: v_exp_bf16_e32 v5.l, s105               ; encoding: [0x69,0xfa,0x0a,0x7e]

v_exp_bf16 v5.l, vcc_lo
// GFX1250: v_exp_bf16_e32 v5.l, vcc_lo             ; encoding: [0x6a,0xfa,0x0a,0x7e]

v_exp_bf16 v5.l, vcc_hi
// GFX1250: v_exp_bf16_e32 v5.l, vcc_hi             ; encoding: [0x6b,0xfa,0x0a,0x7e]

v_exp_bf16 v5.l, ttmp15
// GFX1250: v_exp_bf16_e32 v5.l, ttmp15             ; encoding: [0x7b,0xfa,0x0a,0x7e]

v_exp_bf16 v5.l, m0
// GFX1250: v_exp_bf16_e32 v5.l, m0                 ; encoding: [0x7d,0xfa,0x0a,0x7e]

v_exp_bf16 v5.l, exec_lo
// GFX1250: v_exp_bf16_e32 v5.l, exec_lo            ; encoding: [0x7e,0xfa,0x0a,0x7e]

v_exp_bf16 v5.l, exec_hi
// GFX1250: v_exp_bf16_e32 v5.l, exec_hi            ; encoding: [0x7f,0xfa,0x0a,0x7e]

v_exp_bf16 v5.l, null
// GFX1250: v_exp_bf16_e32 v5.l, null               ; encoding: [0x7c,0xfa,0x0a,0x7e]

v_exp_bf16 v5.l, -1
// GFX1250: v_exp_bf16_e32 v5.l, -1                 ; encoding: [0xc1,0xfa,0x0a,0x7e]

v_exp_bf16 v5.l, 0.5
// GFX1250: v_exp_bf16_e32 v5.l, 0.5                ; encoding: [0xf0,0xfa,0x0a,0x7e]

v_exp_bf16 v5.l, src_scc
// GFX1250: v_exp_bf16_e32 v5.l, src_scc            ; encoding: [0xfd,0xfa,0x0a,0x7e]

v_exp_bf16 v127.l, 0x8000
// GFX1250: v_exp_bf16_e32 v127.l, 0x8000           ; encoding: [0xff,0xfa,0xfe,0x7e,0x00,0x80,0x00,0x00]

v_exp_bf16 v5.h, v1.h
// GFX1250: v_exp_bf16_e32 v5.h, v1.h               ; encoding: [0x81,0xfb,0x0a,0x7f]

v_sin_bf16 v5.l, v1.l
// GFX1250: v_sin_bf16_e32 v5.l, v1.l               ; encoding: [0x01,0xfd,0x0a,0x7e]

v_sin_bf16 v5.l, v127.l
// GFX1250: v_sin_bf16_e32 v5.l, v127.l             ; encoding: [0x7f,0xfd,0x0a,0x7e]

v_sin_bf16 v5.l, s1
// GFX1250: v_sin_bf16_e32 v5.l, s1                 ; encoding: [0x01,0xfc,0x0a,0x7e]

v_sin_bf16 v5.l, s105
// GFX1250: v_sin_bf16_e32 v5.l, s105               ; encoding: [0x69,0xfc,0x0a,0x7e]

v_sin_bf16 v5.l, vcc_lo
// GFX1250: v_sin_bf16_e32 v5.l, vcc_lo             ; encoding: [0x6a,0xfc,0x0a,0x7e]

v_sin_bf16 v5.l, vcc_hi
// GFX1250: v_sin_bf16_e32 v5.l, vcc_hi             ; encoding: [0x6b,0xfc,0x0a,0x7e]

v_sin_bf16 v5.l, ttmp15
// GFX1250: v_sin_bf16_e32 v5.l, ttmp15             ; encoding: [0x7b,0xfc,0x0a,0x7e]

v_sin_bf16 v5.l, m0
// GFX1250: v_sin_bf16_e32 v5.l, m0                 ; encoding: [0x7d,0xfc,0x0a,0x7e]

v_sin_bf16 v5.l, exec_lo
// GFX1250: v_sin_bf16_e32 v5.l, exec_lo            ; encoding: [0x7e,0xfc,0x0a,0x7e]

v_sin_bf16 v5.l, exec_hi
// GFX1250: v_sin_bf16_e32 v5.l, exec_hi            ; encoding: [0x7f,0xfc,0x0a,0x7e]

v_sin_bf16 v5.l, null
// GFX1250: v_sin_bf16_e32 v5.l, null               ; encoding: [0x7c,0xfc,0x0a,0x7e]

v_sin_bf16 v5.l, -1
// GFX1250: v_sin_bf16_e32 v5.l, -1                 ; encoding: [0xc1,0xfc,0x0a,0x7e]

v_sin_bf16 v5.l, 0.5
// GFX1250: v_sin_bf16_e32 v5.l, 0.5                ; encoding: [0xf0,0xfc,0x0a,0x7e]

v_sin_bf16 v5.l, src_scc
// GFX1250: v_sin_bf16_e32 v5.l, src_scc            ; encoding: [0xfd,0xfc,0x0a,0x7e]

v_sin_bf16 v127.l, 0x8000
// GFX1250: v_sin_bf16_e32 v127.l, 0x8000           ; encoding: [0xff,0xfc,0xfe,0x7e,0x00,0x80,0x00,0x00]

v_sin_bf16 v5.h, v1.h
// GFX1250: v_sin_bf16_e32 v5.h, v1.h               ; encoding: [0x81,0xfd,0x0a,0x7f]

v_cos_bf16 v5.l, v1.l
// GFX1250: v_cos_bf16_e32 v5.l, v1.l               ; encoding: [0x01,0xff,0x0a,0x7e]

v_cos_bf16 v5.l, v127.l
// GFX1250: v_cos_bf16_e32 v5.l, v127.l             ; encoding: [0x7f,0xff,0x0a,0x7e]

v_cos_bf16 v5.l, s1
// GFX1250: v_cos_bf16_e32 v5.l, s1                 ; encoding: [0x01,0xfe,0x0a,0x7e]

v_cos_bf16 v5.l, s105
// GFX1250: v_cos_bf16_e32 v5.l, s105               ; encoding: [0x69,0xfe,0x0a,0x7e]

v_cos_bf16 v5.l, vcc_lo
// GFX1250: v_cos_bf16_e32 v5.l, vcc_lo             ; encoding: [0x6a,0xfe,0x0a,0x7e]

v_cos_bf16 v5.l, vcc_hi
// GFX1250: v_cos_bf16_e32 v5.l, vcc_hi             ; encoding: [0x6b,0xfe,0x0a,0x7e]

v_cos_bf16 v5.l, ttmp15
// GFX1250: v_cos_bf16_e32 v5.l, ttmp15             ; encoding: [0x7b,0xfe,0x0a,0x7e]

v_cos_bf16 v5.l, m0
// GFX1250: v_cos_bf16_e32 v5.l, m0                 ; encoding: [0x7d,0xfe,0x0a,0x7e]

v_cos_bf16 v5.l, exec_lo
// GFX1250: v_cos_bf16_e32 v5.l, exec_lo            ; encoding: [0x7e,0xfe,0x0a,0x7e]

v_cos_bf16 v5.l, exec_hi
// GFX1250: v_cos_bf16_e32 v5.l, exec_hi            ; encoding: [0x7f,0xfe,0x0a,0x7e]

v_cos_bf16 v5.l, null
// GFX1250: v_cos_bf16_e32 v5.l, null               ; encoding: [0x7c,0xfe,0x0a,0x7e]

v_cos_bf16 v5.l, -1
// GFX1250: v_cos_bf16_e32 v5.l, -1                 ; encoding: [0xc1,0xfe,0x0a,0x7e]

v_cos_bf16 v5.l, 0.5
// GFX1250: v_cos_bf16_e32 v5.l, 0.5                ; encoding: [0xf0,0xfe,0x0a,0x7e]

v_cos_bf16 v5.l, src_scc
// GFX1250: v_cos_bf16_e32 v5.l, src_scc            ; encoding: [0xfd,0xfe,0x0a,0x7e]

v_cos_bf16 v127.l, 0x8000
// GFX1250: v_cos_bf16_e32 v127.l, 0x8000           ; encoding: [0xff,0xfe,0xfe,0x7e,0x00,0x80,0x00,0x00]

v_cos_bf16 v5.h, v1.h
// GFX1250: v_cos_bf16_e32 v5.h, v1.h               ; encoding: [0x81,0xff,0x0a,0x7f]

v_cvt_f32_bf16 v5, v1.l
// GFX1250: v_cvt_f32_bf16_e32 v5, v1.l             ; encoding: [0x01,0xe5,0x0a,0x7e]

v_cvt_f32_bf16 v5, v127.l
// GFX1250: v_cvt_f32_bf16_e32 v5, v127.l           ; encoding: [0x7f,0xe5,0x0a,0x7e]

v_cvt_f32_bf16 v5, s1
// GFX1250: v_cvt_f32_bf16_e32 v5, s1               ; encoding: [0x01,0xe4,0x0a,0x7e]

v_cvt_f32_bf16 v5, s105
// GFX1250: v_cvt_f32_bf16_e32 v5, s105             ; encoding: [0x69,0xe4,0x0a,0x7e]

v_cvt_f32_bf16 v5, vcc_lo
// GFX1250: v_cvt_f32_bf16_e32 v5, vcc_lo           ; encoding: [0x6a,0xe4,0x0a,0x7e]

v_cvt_f32_bf16 v5, vcc_hi
// GFX1250: v_cvt_f32_bf16_e32 v5, vcc_hi           ; encoding: [0x6b,0xe4,0x0a,0x7e]

v_cvt_f32_bf16 v5, ttmp15
// GFX1250: v_cvt_f32_bf16_e32 v5, ttmp15           ; encoding: [0x7b,0xe4,0x0a,0x7e]

v_cvt_f32_bf16 v5, m0
// GFX1250: v_cvt_f32_bf16_e32 v5, m0               ; encoding: [0x7d,0xe4,0x0a,0x7e]

v_cvt_f32_bf16 v5, exec_lo
// GFX1250: v_cvt_f32_bf16_e32 v5, exec_lo          ; encoding: [0x7e,0xe4,0x0a,0x7e]

v_cvt_f32_bf16 v5, exec_hi
// GFX1250: v_cvt_f32_bf16_e32 v5, exec_hi          ; encoding: [0x7f,0xe4,0x0a,0x7e]

v_cvt_f32_bf16 v5, null
// GFX1250: v_cvt_f32_bf16_e32 v5, null             ; encoding: [0x7c,0xe4,0x0a,0x7e]

v_cvt_f32_bf16 v5, -1
// GFX1250: v_cvt_f32_bf16_e32 v5, -1               ; encoding: [0xc1,0xe4,0x0a,0x7e]

v_cvt_f32_bf16 v5, 0.5
// GFX1250: v_cvt_f32_bf16_e32 v5, 0.5              ; encoding: [0xf0,0xe4,0x0a,0x7e]

v_cvt_f32_bf16 v5, src_scc
// GFX1250: v_cvt_f32_bf16_e32 v5, src_scc          ; encoding: [0xfd,0xe4,0x0a,0x7e]

v_cvt_f32_bf16 v127, 0x8000
// GFX1250: v_cvt_f32_bf16_e32 v127, 0x8000         ; encoding: [0xff,0xe4,0xfe,0x7e,0x00,0x80,0x00,0x00]

v_cvt_f32_bf16 v5, v1.h
// GFX1250: v_cvt_f32_bf16_e32 v5, v1.h             ; encoding: [0x81,0xe5,0x0a,0x7e]

v_cvt_f16_bf8 v1.l, v2
// GFX1250: v_cvt_f16_bf8_e32 v1.l, v2              ; encoding: [0x02,0xf1,0x02,0x7e]

v_cvt_f16_bf8 v1.l, s2
// GFX1250: v_cvt_f16_bf8_e32 v1.l, s2              ; encoding: [0x02,0xf0,0x02,0x7e]

v_cvt_f16_bf8 v1.l, 2
// GFX1250: v_cvt_f16_bf8_e32 v1.l, 2               ; encoding: [0x82,0xf0,0x02,0x7e]

v_cvt_f16_bf8 v1.l, 0x1234
// GFX1250: v_cvt_f16_bf8_e32 v1.l, 0x1234          ; encoding: [0xff,0xf0,0x02,0x7e,0x34,0x12,0x00,0x00]

v_cvt_f16_bf8 v1.h, v2
// GFX1250: v_cvt_f16_bf8_e32 v1.h, v2              ; encoding: [0x02,0xf1,0x02,0x7f]

v_cvt_f16_fp8 v1.l, v2
// GFX1250: v_cvt_f16_fp8_e32 v1.l, v2              ; encoding: [0x02,0xef,0x02,0x7e]

v_cvt_f16_fp8 v1.l, s2
// GFX1250: v_cvt_f16_fp8_e32 v1.l, s2              ; encoding: [0x02,0xee,0x02,0x7e]

v_cvt_f16_fp8 v1.l, 2
// GFX1250: v_cvt_f16_fp8_e32 v1.l, 2               ; encoding: [0x82,0xee,0x02,0x7e]

v_cvt_f16_fp8 v1.l, 0x1234
// GFX1250: v_cvt_f16_fp8_e32 v1.l, 0x1234          ; encoding: [0xff,0xee,0x02,0x7e,0x34,0x12,0x00,0x00]

v_cvt_f16_fp8 v1.h, v2
// GFX1250: v_cvt_f16_fp8_e32 v1.h, v2              ; encoding: [0x02,0xef,0x02,0x7f]

v_cvt_pk_f16_bf8 v1, v2.l
// GFX1250: v_cvt_pk_f16_bf8 v1, v2.l               ; encoding: [0x02,0xed,0x02,0x7e]

v_cvt_pk_f16_bf8 v1, s2
// GFX1250: v_cvt_pk_f16_bf8 v1, s2                 ; encoding: [0x02,0xec,0x02,0x7e]

v_cvt_pk_f16_bf8 v1, 100
// GFX1250: v_cvt_pk_f16_bf8 v1, 0x64               ; encoding: [0xff,0xec,0x02,0x7e,0x64,0x00,0x00,0x00]

v_cvt_pk_f16_fp8 v1, v2.l
// GFX1250: v_cvt_pk_f16_fp8 v1, v2.l               ; encoding: [0x02,0xeb,0x02,0x7e]

v_cvt_pk_f16_fp8 v1, s2
// GFX1250: v_cvt_pk_f16_fp8 v1, s2                 ; encoding: [0x02,0xea,0x02,0x7e]

v_cvt_pk_f16_fp8 v1, 100
// GFX1250: v_cvt_pk_f16_fp8 v1, 0x64               ; encoding: [0xff,0xea,0x02,0x7e,0x64,0x00,0x00,0x00]

v_cvt_f32_bf8_e32 v1, s3
// GFX1250: v_cvt_f32_bf8_e32 v1, s3                ; encoding: [0x03,0xda,0x02,0x7e]

v_cvt_f32_bf8_e32 v1, 3
// GFX1250: v_cvt_f32_bf8_e32 v1, 3                 ; encoding: [0x83,0xda,0x02,0x7e]

v_cvt_f32_bf8_e32 v1, v3
// GFX1250: v_cvt_f32_bf8_e32 v1, v3                ; encoding: [0x03,0xdb,0x02,0x7e]

v_cvt_f32_fp8_e32 v1, s3
// GFX1250: v_cvt_f32_fp8_e32 v1, s3                ; encoding: [0x03,0xd8,0x02,0x7e]

v_cvt_f32_fp8_e32 v1, 3
// GFX1250: v_cvt_f32_fp8_e32 v1, 3                 ; encoding: [0x83,0xd8,0x02,0x7e]

v_cvt_f32_fp8_e32 v1, v3
// GFX1250: v_cvt_f32_fp8_e32 v1, v3                ; encoding: [0x03,0xd9,0x02,0x7e]

v_cvt_pk_f32_bf8_e32 v[2:3], s3
// GFX1250: v_cvt_pk_f32_bf8_e32 v[2:3], s3         ; encoding: [0x03,0xde,0x04,0x7e]

v_cvt_pk_f32_bf8_e32 v[4:5], s5
// GFX1250: v_cvt_pk_f32_bf8_e32 v[4:5], s5         ; encoding: [0x05,0xde,0x08,0x7e]

v_cvt_pk_f32_bf8_e32 v[2:3], 3
// GFX1250: v_cvt_pk_f32_bf8_e32 v[2:3], 3          ; encoding: [0x83,0xde,0x04,0x7e]

v_cvt_pk_f32_bf8_e32 v[4:5], 3
// GFX1250: v_cvt_pk_f32_bf8_e32 v[4:5], 3          ; encoding: [0x83,0xde,0x08,0x7e]

v_cvt_pk_f32_bf8_e32 v[2:3], v3.l
// GFX1250: v_cvt_pk_f32_bf8_e32 v[2:3], v3.l       ; encoding: [0x03,0xdf,0x04,0x7e]

v_cvt_pk_f32_bf8_e32 v[4:5], v3.l
// GFX1250: v_cvt_pk_f32_bf8_e32 v[4:5], v3.l       ; encoding: [0x03,0xdf,0x08,0x7e]

v_cvt_pk_f32_bf8_e32 v[4:5], v127.h
// GFX1250: v_cvt_pk_f32_bf8_e32 v[4:5], v127.h     ; encoding: [0xff,0xdf,0x08,0x7e]

v_cvt_pk_f32_bf8_e32 v[4:5], v127.l
// GFX1250: v_cvt_pk_f32_bf8_e32 v[4:5], v127.l     ; encoding: [0x7f,0xdf,0x08,0x7e]

v_cvt_pk_f32_fp8_e32 v[2:3], s3
// GFX1250: v_cvt_pk_f32_fp8_e32 v[2:3], s3         ; encoding: [0x03,0xdc,0x04,0x7e]

v_cvt_pk_f32_fp8_e32 v[2:3], 3
// GFX1250: v_cvt_pk_f32_fp8_e32 v[2:3], 3          ; encoding: [0x83,0xdc,0x04,0x7e]

v_cvt_pk_f32_fp8_e32 v[2:3], v3.l
// GFX1250: v_cvt_pk_f32_fp8_e32 v[2:3], v3.l       ; encoding: [0x03,0xdd,0x04,0x7e]

v_cvt_pk_f32_fp8_e32 v[4:5], v127.h
// GFX1250: v_cvt_pk_f32_fp8_e32 v[4:5], v127.h     ; encoding: [0xff,0xdd,0x08,0x7e]

v_cvt_pk_f32_fp8_e32 v[4:5], v127.l
// GFX1250: v_cvt_pk_f32_fp8_e32 v[4:5], v127.l     ; encoding: [0x7f,0xdd,0x08,0x7e]

v_sat_pk4_i4_i8 v1.l, v2
// GFX1250: v_sat_pk4_i4_i8_e32 v1.l, v2            ; encoding: [0x02,0xe7,0x02,0x7e]

v_sat_pk4_i4_i8 v1.l, s2
// GFX1250: v_sat_pk4_i4_i8_e32 v1.l, s2            ; encoding: [0x02,0xe6,0x02,0x7e]

v_sat_pk4_i4_i8 v1.l, 2
// GFX1250: v_sat_pk4_i4_i8_e32 v1.l, 2             ; encoding: [0x82,0xe6,0x02,0x7e]

v_sat_pk4_i4_i8 v1.l, 0x1234
// GFX1250: v_sat_pk4_i4_i8_e32 v1.l, 0x1234        ; encoding: [0xff,0xe6,0x02,0x7e,0x34,0x12,0x00,0x00]

v_sat_pk4_i4_i8 v1.h, v2
// GFX1250: v_sat_pk4_i4_i8_e32 v1.h, v2            ; encoding: [0x02,0xe7,0x02,0x7f]

v_sat_pk4_u4_u8 v1.l, v2
// GFX1250: v_sat_pk4_u4_u8_e32 v1.l, v2            ; encoding: [0x02,0xe9,0x02,0x7e]

v_sat_pk4_u4_u8 v1.l, s2
// GFX1250: v_sat_pk4_u4_u8_e32 v1.l, s2            ; encoding: [0x02,0xe8,0x02,0x7e]

v_sat_pk4_u4_u8 v1.l, 2
// GFX1250: v_sat_pk4_u4_u8_e32 v1.l, 2             ; encoding: [0x82,0xe8,0x02,0x7e]

v_sat_pk4_u4_u8 v1.l, 0x1234
// GFX1250: v_sat_pk4_u4_u8_e32 v1.l, 0x1234        ; encoding: [0xff,0xe8,0x02,0x7e,0x34,0x12,0x00,0x00]

v_sat_pk4_u4_u8 v1.h, v2
// GFX1250: v_sat_pk4_u4_u8_e32 v1.h, v2            ; encoding: [0x02,0xe9,0x02,0x7f]

v_permlane16_swap_b32 v1, v2
// GFX1250: v_permlane16_swap_b32_e32 v1, v2        ; encoding: [0x02,0x93,0x02,0x7e]

v_permlane16_swap_b32_e32 v1, v2
// GFX1250: v_permlane16_swap_b32_e32 v1, v2        ; encoding: [0x02,0x93,0x02,0x7e]
